;; amdgpu-corpus repo=ROCm/rocFFT kind=compiled arch=gfx950 opt=O3
	.text
	.amdgcn_target "amdgcn-amd-amdhsa--gfx950"
	.amdhsa_code_object_version 6
	.protected	fft_rtc_fwd_len85_factors_17_5_wgs_255_tpt_17_halfLds_sp_op_CI_CI_unitstride_sbrr_dirReg ; -- Begin function fft_rtc_fwd_len85_factors_17_5_wgs_255_tpt_17_halfLds_sp_op_CI_CI_unitstride_sbrr_dirReg
	.globl	fft_rtc_fwd_len85_factors_17_5_wgs_255_tpt_17_halfLds_sp_op_CI_CI_unitstride_sbrr_dirReg
	.p2align	8
	.type	fft_rtc_fwd_len85_factors_17_5_wgs_255_tpt_17_halfLds_sp_op_CI_CI_unitstride_sbrr_dirReg,@function
fft_rtc_fwd_len85_factors_17_5_wgs_255_tpt_17_halfLds_sp_op_CI_CI_unitstride_sbrr_dirReg: ; @fft_rtc_fwd_len85_factors_17_5_wgs_255_tpt_17_halfLds_sp_op_CI_CI_unitstride_sbrr_dirReg
; %bb.0:
	s_load_dwordx4 s[4:7], s[0:1], 0x58
	s_load_dwordx4 s[8:11], s[0:1], 0x0
	;; [unrolled: 1-line block ×3, first 2 shown]
	v_mul_u32_u24_e32 v1, 0xf10, v0
	v_lshrrev_b32_e32 v2, 16, v1
	v_mad_u64_u32 v[32:33], s[2:3], s2, 15, v[2:3]
	v_mov_b32_e32 v6, 0
	v_mov_b32_e32 v33, v6
	s_waitcnt lgkmcnt(0)
	v_cmp_lt_u64_e64 s[2:3], s[10:11], 2
	v_mov_b64_e32 v[34:35], 0
	s_and_b64 vcc, exec, s[2:3]
	v_mov_b64_e32 v[2:3], v[34:35]
	v_mov_b64_e32 v[4:5], v[32:33]
	s_cbranch_vccnz .LBB0_8
; %bb.1:
	s_load_dwordx2 s[2:3], s[0:1], 0x10
	s_add_u32 s16, s14, 8
	s_addc_u32 s17, s15, 0
	s_add_u32 s18, s12, 8
	s_addc_u32 s19, s13, 0
	s_waitcnt lgkmcnt(0)
	s_add_u32 s20, s2, 8
	v_mov_b64_e32 v[34:35], 0
	s_addc_u32 s21, s3, 0
	s_mov_b64 s[22:23], 1
	v_mov_b64_e32 v[2:3], v[34:35]
	v_mov_b64_e32 v[8:9], v[32:33]
.LBB0_2:                                ; =>This Inner Loop Header: Depth=1
	s_load_dwordx2 s[24:25], s[20:21], 0x0
                                        ; implicit-def: $vgpr4_vgpr5
	s_waitcnt lgkmcnt(0)
	v_or_b32_e32 v7, s25, v9
	v_cmp_ne_u64_e32 vcc, 0, v[6:7]
	s_and_saveexec_b64 s[2:3], vcc
	s_xor_b64 s[26:27], exec, s[2:3]
	s_cbranch_execz .LBB0_4
; %bb.3:                                ;   in Loop: Header=BB0_2 Depth=1
	v_cvt_f32_u32_e32 v1, s24
	v_cvt_f32_u32_e32 v4, s25
	s_sub_u32 s2, 0, s24
	s_subb_u32 s3, 0, s25
	v_fmac_f32_e32 v1, 0x4f800000, v4
	v_rcp_f32_e32 v1, v1
	s_nop 0
	v_mul_f32_e32 v1, 0x5f7ffffc, v1
	v_mul_f32_e32 v4, 0x2f800000, v1
	v_trunc_f32_e32 v4, v4
	v_fmac_f32_e32 v1, 0xcf800000, v4
	v_cvt_u32_f32_e32 v7, v4
	v_cvt_u32_f32_e32 v1, v1
	v_mul_lo_u32 v4, s2, v7
	v_mul_hi_u32 v10, s2, v1
	v_mul_lo_u32 v5, s3, v1
	v_add_u32_e32 v10, v10, v4
	v_mul_lo_u32 v12, s2, v1
	v_add_u32_e32 v13, v10, v5
	v_mul_hi_u32 v4, v1, v12
	v_mul_hi_u32 v11, v1, v13
	v_mul_lo_u32 v10, v1, v13
	v_mov_b32_e32 v5, v6
	v_lshl_add_u64 v[4:5], v[4:5], 0, v[10:11]
	v_mul_hi_u32 v11, v7, v12
	v_mul_lo_u32 v12, v7, v12
	v_add_co_u32_e32 v4, vcc, v4, v12
	v_mul_hi_u32 v10, v7, v13
	s_nop 0
	v_addc_co_u32_e32 v4, vcc, v5, v11, vcc
	v_mov_b32_e32 v5, v6
	s_nop 0
	v_addc_co_u32_e32 v11, vcc, 0, v10, vcc
	v_mul_lo_u32 v10, v7, v13
	v_lshl_add_u64 v[4:5], v[4:5], 0, v[10:11]
	v_add_co_u32_e32 v1, vcc, v1, v4
	v_mul_lo_u32 v10, s2, v1
	s_nop 0
	v_addc_co_u32_e32 v7, vcc, v7, v5, vcc
	v_mul_lo_u32 v4, s2, v7
	v_mul_hi_u32 v5, s2, v1
	v_add_u32_e32 v4, v5, v4
	v_mul_lo_u32 v5, s3, v1
	v_add_u32_e32 v12, v4, v5
	v_mul_hi_u32 v14, v7, v10
	v_mul_lo_u32 v15, v7, v10
	v_mul_hi_u32 v5, v1, v12
	v_mul_lo_u32 v4, v1, v12
	v_mul_hi_u32 v10, v1, v10
	v_mov_b32_e32 v11, v6
	v_lshl_add_u64 v[4:5], v[10:11], 0, v[4:5]
	v_add_co_u32_e32 v4, vcc, v4, v15
	v_mul_hi_u32 v13, v7, v12
	s_nop 0
	v_addc_co_u32_e32 v4, vcc, v5, v14, vcc
	v_mul_lo_u32 v10, v7, v12
	s_nop 0
	v_addc_co_u32_e32 v11, vcc, 0, v13, vcc
	v_mov_b32_e32 v5, v6
	v_lshl_add_u64 v[4:5], v[4:5], 0, v[10:11]
	v_add_co_u32_e32 v1, vcc, v1, v4
	v_mul_hi_u32 v10, v8, v1
	s_nop 0
	v_addc_co_u32_e32 v7, vcc, v7, v5, vcc
	v_mad_u64_u32 v[4:5], s[2:3], v8, v7, 0
	v_mov_b32_e32 v11, v6
	v_lshl_add_u64 v[4:5], v[10:11], 0, v[4:5]
	v_mad_u64_u32 v[12:13], s[2:3], v9, v1, 0
	v_add_co_u32_e32 v1, vcc, v4, v12
	v_mad_u64_u32 v[10:11], s[2:3], v9, v7, 0
	s_nop 0
	v_addc_co_u32_e32 v4, vcc, v5, v13, vcc
	v_mov_b32_e32 v5, v6
	s_nop 0
	v_addc_co_u32_e32 v11, vcc, 0, v11, vcc
	v_lshl_add_u64 v[4:5], v[4:5], 0, v[10:11]
	v_mul_lo_u32 v1, s25, v4
	v_mul_lo_u32 v7, s24, v5
	v_mad_u64_u32 v[10:11], s[2:3], s24, v4, 0
	v_add3_u32 v1, v11, v7, v1
	v_sub_u32_e32 v7, v9, v1
	v_mov_b32_e32 v11, s25
	v_sub_co_u32_e32 v14, vcc, v8, v10
	v_lshl_add_u64 v[12:13], v[4:5], 0, 1
	s_nop 0
	v_subb_co_u32_e64 v7, s[2:3], v7, v11, vcc
	v_subrev_co_u32_e64 v10, s[2:3], s24, v14
	v_subb_co_u32_e32 v1, vcc, v9, v1, vcc
	s_nop 0
	v_subbrev_co_u32_e64 v7, s[2:3], 0, v7, s[2:3]
	v_cmp_le_u32_e64 s[2:3], s25, v7
	v_cmp_le_u32_e32 vcc, s25, v1
	s_nop 0
	v_cndmask_b32_e64 v11, 0, -1, s[2:3]
	v_cmp_le_u32_e64 s[2:3], s24, v10
	s_nop 1
	v_cndmask_b32_e64 v10, 0, -1, s[2:3]
	v_cmp_eq_u32_e64 s[2:3], s25, v7
	s_nop 1
	v_cndmask_b32_e64 v7, v11, v10, s[2:3]
	v_lshl_add_u64 v[10:11], v[4:5], 0, 2
	v_cmp_ne_u32_e64 s[2:3], 0, v7
	s_nop 1
	v_cndmask_b32_e64 v7, v13, v11, s[2:3]
	v_cndmask_b32_e64 v11, 0, -1, vcc
	v_cmp_le_u32_e32 vcc, s24, v14
	s_nop 1
	v_cndmask_b32_e64 v13, 0, -1, vcc
	v_cmp_eq_u32_e32 vcc, s25, v1
	s_nop 1
	v_cndmask_b32_e32 v1, v11, v13, vcc
	v_cmp_ne_u32_e32 vcc, 0, v1
	v_cndmask_b32_e64 v1, v12, v10, s[2:3]
	s_nop 0
	v_cndmask_b32_e32 v5, v5, v7, vcc
	v_cndmask_b32_e32 v4, v4, v1, vcc
.LBB0_4:                                ;   in Loop: Header=BB0_2 Depth=1
	s_andn2_saveexec_b64 s[2:3], s[26:27]
	s_cbranch_execz .LBB0_6
; %bb.5:                                ;   in Loop: Header=BB0_2 Depth=1
	v_cvt_f32_u32_e32 v1, s24
	s_sub_i32 s26, 0, s24
	v_rcp_iflag_f32_e32 v1, v1
	s_nop 0
	v_mul_f32_e32 v1, 0x4f7ffffe, v1
	v_cvt_u32_f32_e32 v1, v1
	v_mul_lo_u32 v4, s26, v1
	v_mul_hi_u32 v4, v1, v4
	v_add_u32_e32 v1, v1, v4
	v_mul_hi_u32 v1, v8, v1
	v_mul_lo_u32 v4, v1, s24
	v_sub_u32_e32 v4, v8, v4
	v_add_u32_e32 v5, 1, v1
	v_subrev_u32_e32 v7, s24, v4
	v_cmp_le_u32_e32 vcc, s24, v4
	s_nop 1
	v_cndmask_b32_e32 v4, v4, v7, vcc
	v_cndmask_b32_e32 v1, v1, v5, vcc
	v_add_u32_e32 v5, 1, v1
	v_cmp_le_u32_e32 vcc, s24, v4
	s_nop 1
	v_cndmask_b32_e32 v4, v1, v5, vcc
	v_mov_b32_e32 v5, v6
.LBB0_6:                                ;   in Loop: Header=BB0_2 Depth=1
	s_or_b64 exec, exec, s[2:3]
	v_mad_u64_u32 v[10:11], s[2:3], v4, s24, 0
	s_load_dwordx2 s[2:3], s[18:19], 0x0
	v_mul_lo_u32 v1, v5, s24
	v_mul_lo_u32 v7, v4, s25
	s_load_dwordx2 s[24:25], s[16:17], 0x0
	s_add_u32 s22, s22, 1
	v_add3_u32 v1, v11, v7, v1
	v_sub_co_u32_e32 v7, vcc, v8, v10
	s_addc_u32 s23, s23, 0
	s_nop 0
	v_subb_co_u32_e32 v1, vcc, v9, v1, vcc
	s_add_u32 s16, s16, 8
	s_waitcnt lgkmcnt(0)
	v_mul_lo_u32 v8, s2, v1
	v_mul_lo_u32 v9, s3, v7
	v_mad_u64_u32 v[34:35], s[2:3], s2, v7, v[34:35]
	s_addc_u32 s17, s17, 0
	v_add3_u32 v35, v9, v35, v8
	v_mul_lo_u32 v1, s24, v1
	v_mul_lo_u32 v8, s25, v7
	v_mad_u64_u32 v[2:3], s[2:3], s24, v7, v[2:3]
	s_add_u32 s18, s18, 8
	v_add3_u32 v3, v8, v3, v1
	s_addc_u32 s19, s19, 0
	v_mov_b64_e32 v[8:9], s[10:11]
	s_add_u32 s20, s20, 8
	v_cmp_ge_u64_e32 vcc, s[22:23], v[8:9]
	s_addc_u32 s21, s21, 0
	s_cbranch_vccnz .LBB0_8
; %bb.7:                                ;   in Loop: Header=BB0_2 Depth=1
	v_mov_b64_e32 v[8:9], v[4:5]
	s_branch .LBB0_2
.LBB0_8:
	s_load_dwordx2 s[0:1], s[0:1], 0x28
	s_lshl_b64 s[16:17], s[10:11], 3
	s_add_u32 s2, s14, s16
	s_addc_u32 s3, s15, s17
	s_load_dwordx2 s[2:3], s[2:3], 0x0
	s_waitcnt lgkmcnt(0)
	v_cmp_gt_u64_e32 vcc, s[0:1], v[4:5]
	s_mov_b32 s0, 0xf0f0f10
	v_mul_hi_u32 v1, v0, s0
	v_mul_u32_u24_e32 v1, 17, v1
	v_sub_u32_e32 v0, v0, v1
	v_mov_b32_e32 v8, 0
	v_mov_b32_e32 v7, 0
	;; [unrolled: 1-line block ×3, first 2 shown]
                                        ; implicit-def: $vgpr63
                                        ; implicit-def: $vgpr12
                                        ; implicit-def: $vgpr28
                                        ; implicit-def: $vgpr16
                                        ; implicit-def: $vgpr30
                                        ; implicit-def: $vgpr14
                                        ; implicit-def: $vgpr64
                                        ; implicit-def: $vgpr26
                                        ; implicit-def: $vgpr66
                                        ; implicit-def: $vgpr22
                                        ; implicit-def: $vgpr68
                                        ; implicit-def: $vgpr20
                                        ; implicit-def: $vgpr70
                                        ; implicit-def: $vgpr18
                                        ; implicit-def: $vgpr24
                                        ; implicit-def: $vgpr10
	s_and_saveexec_b64 s[10:11], vcc
	s_cbranch_execz .LBB0_12
; %bb.9:
	v_cmp_gt_u32_e64 s[0:1], 5, v0
	v_mov_b32_e32 v6, 0
	v_mov_b32_e32 v7, 0
                                        ; implicit-def: $vgpr11
                                        ; implicit-def: $vgpr25
                                        ; implicit-def: $vgpr19
                                        ; implicit-def: $vgpr71
                                        ; implicit-def: $vgpr21
                                        ; implicit-def: $vgpr69
                                        ; implicit-def: $vgpr23
                                        ; implicit-def: $vgpr67
                                        ; implicit-def: $vgpr27
                                        ; implicit-def: $vgpr65
                                        ; implicit-def: $vgpr15
                                        ; implicit-def: $vgpr31
                                        ; implicit-def: $vgpr17
                                        ; implicit-def: $vgpr29
                                        ; implicit-def: $vgpr13
                                        ; implicit-def: $vgpr62
	s_and_saveexec_b64 s[14:15], s[0:1]
	s_cbranch_execz .LBB0_11
; %bb.10:
	s_add_u32 s0, s12, s16
	s_addc_u32 s1, s13, s17
	s_load_dwordx2 s[0:1], s[0:1], 0x0
	v_mov_b32_e32 v1, 0
	s_waitcnt lgkmcnt(0)
	v_mul_lo_u32 v8, s1, v4
	v_mul_lo_u32 v9, s0, v5
	v_mad_u64_u32 v[6:7], s[0:1], s0, v4, 0
	v_add3_u32 v7, v7, v9, v8
	v_lshl_add_u64 v[6:7], v[6:7], 3, s[4:5]
	v_lshl_add_u64 v[6:7], v[34:35], 3, v[6:7]
	;; [unrolled: 1-line block ×3, first 2 shown]
	global_load_dwordx2 v[6:7], v[8:9], off
	global_load_dwordx2 v[24:25], v[8:9], off offset:40
	global_load_dwordx2 v[12:13], v[8:9], off offset:320
	;; [unrolled: 1-line block ×16, first 2 shown]
.LBB0_11:
	s_or_b64 exec, exec, s[14:15]
	v_mov_b32_e32 v8, v0
.LBB0_12:
	s_or_b64 exec, exec, s[10:11]
	s_mov_b32 s0, 0x88888889
	v_mul_hi_u32 v1, v32, s0
	v_lshrrev_b32_e32 v1, 3, v1
	v_mul_lo_u32 v1, v1, 15
	v_sub_u32_e32 v1, v32, v1
	v_mul_u32_u24_e32 v1, 0x55, v1
	s_waitcnt vmcnt(0)
	v_pk_add_f32 v[60:61], v[24:25], v[10:11] neg_lo:[0,1] neg_hi:[0,1]
	v_pk_add_f32 v[34:35], v[70:71], v[18:19]
	v_pk_add_f32 v[58:59], v[70:71], v[18:19] neg_lo:[0,1] neg_hi:[0,1]
	v_pk_add_f32 v[36:37], v[68:69], v[20:21]
	;; [unrolled: 2-line block ×6, first 2 shown]
	v_cmp_gt_u32_e64 s[0:1], 5, v0
	v_lshlrev_b32_e32 v1, 2, v1
	v_pk_add_f32 v[48:49], v[28:29], v[16:17] neg_lo:[0,1] neg_hi:[0,1]
	v_pk_add_f32 v[42:43], v[12:13], v[62:63]
	v_pk_add_f32 v[44:45], v[12:13], v[62:63] neg_lo:[0,1] neg_hi:[0,1]
	s_and_saveexec_b64 s[4:5], s[0:1]
	s_cbranch_execz .LBB0_14
; %bb.13:
	v_mov_b32_e32 v74, v36
	v_mov_b32_e32 v75, v57
	s_mov_b32 s12, 0x3ee437d1
	s_mov_b32 s13, 0xbf65296c
	v_pk_mul_f32 v[72:73], v[74:75], s[12:13]
	v_mov_b32_e32 v76, v38
	v_mov_b32_e32 v9, v72
	;; [unrolled: 1-line block ×3, first 2 shown]
	s_mov_b32 s17, 0xbf7ee86f
	s_mov_b32 s16, 0x3dbcf732
	v_pk_fma_f32 v[84:85], v[74:75], s[12:13], v[8:9] neg_lo:[1,0,0] neg_hi:[1,0,0]
	v_pk_mul_f32 v[74:75], v[76:77], s[16:17]
	v_mov_b32_e32 v78, v40
	v_mov_b32_e32 v9, v74
	;; [unrolled: 1-line block ×3, first 2 shown]
	s_mov_b32 s10, 0xbe8c1d8e
	s_mov_b32 s11, 0xbf763a35
	v_pk_fma_f32 v[86:87], v[76:77], s[16:17], v[8:9] neg_lo:[1,0,0] neg_hi:[1,0,0]
	v_pk_mul_f32 v[76:77], v[78:79], s[10:11]
	s_mov_b32 s20, 0xbf1a4643
	v_mov_b32_e32 v9, v76
	s_mov_b32 s21, 0xbf4c4adb
	v_mov_b32_e32 v80, v46
	v_mov_b32_e32 v81, v51
	v_pk_fma_f32 v[88:89], v[78:79], s[10:11], v[8:9] neg_lo:[1,0,0] neg_hi:[1,0,0]
	v_pk_mul_f32 v[78:79], v[80:81], s[20:21]
	v_mov_b32_e32 v92, v30
	v_mov_b32_e32 v9, v78
	v_pk_fma_f32 v[90:91], v[80:81], s[20:21], v[8:9] neg_lo:[1,0,0] neg_hi:[1,0,0]
	v_mov_b32_e32 v81, v6
	v_mov_b32_e32 v80, v6
	v_pk_add_f32 v[82:83], v[80:81], v[24:25]
	v_mov_b32_e32 v93, v10
	v_pk_add_f32 v[82:83], v[82:83], v[70:71]
	s_mov_b32 s18, 0xbf59a7d5
	v_pk_add_f32 v[82:83], v[82:83], v[68:69]
	s_mov_b32 s19, 0xbf06c442
	;; [unrolled: 2-line block ×4, first 2 shown]
	v_mov_b32_e32 v83, v24
	v_pk_add_f32 v[82:83], v[82:83], v[92:93]
	s_mov_b32 s29, s21
	s_mov_b32 s34, s21
	;; [unrolled: 1-line block ×8, first 2 shown]
	v_pk_mul_f32 v[92:93], v[82:83], s[20:21] op_sel:[1,0]
	v_mov_b32_e32 v80, v62
	s_mov_b32 s30, s27
	s_mov_b32 s31, s14
	v_pk_fma_f32 v[94:95], v[60:61], s[34:35], v[92:93] op_sel:[1,0,0]
	v_pk_mul_f32 v[96:97], v[34:35], s[36:37] op_sel_hi:[0,1]
	s_mov_b32 s63, 0x3f6eb680
	v_pk_add_f32 v[94:95], v[80:81], v[94:95] op_sel:[1,0]
	v_pk_fma_f32 v[98:99], v[58:59], s[30:31], v[96:97] op_sel:[1,0,0]
	s_mov_b32 s21, 0xbeb8f4ab
	s_mov_b32 s38, s63
	;; [unrolled: 1-line block ×3, first 2 shown]
	v_pk_add_f32 v[94:95], v[94:95], v[98:99]
	s_mov_b32 s36, s21
	s_mov_b32 s37, s17
	v_pk_mul_f32 v[98:99], v[36:37], s[38:39] op_sel_hi:[0,1]
	v_pk_fma_f32 v[100:101], v[56:57], s[36:37], v[98:99] op_sel:[1,0,0]
	s_mov_b32 s40, 0x3f4c4adb
	s_mov_b32 s42, s18
	;; [unrolled: 1-line block ×3, first 2 shown]
	v_pk_add_f32 v[94:95], v[94:95], v[100:101]
	s_mov_b32 s38, s19
	s_mov_b32 s39, s40
	v_pk_mul_f32 v[100:101], v[38:39], s[42:43] op_sel_hi:[0,1]
	v_pk_fma_f32 v[102:103], v[54:55], s[38:39], v[100:101] op_sel:[1,0,0]
	s_mov_b32 s47, 0x3f7ee86f
	s_mov_b32 s22, s17
	;; [unrolled: 1-line block ×5, first 2 shown]
	v_pk_add_f32 v[94:95], v[94:95], v[102:103]
	s_mov_b32 s42, s47
	s_mov_b32 s43, s21
	v_pk_mul_f32 v[102:103], v[40:41], s[16:17] op_sel_hi:[0,1]
	s_mov_b32 s64, 0xbf7ba420
	s_mov_b32 s68, 0x3f3d2fb0
	v_pk_fma_f32 v[104:105], v[52:53], s[42:43], v[102:103] op_sel:[1,0,0]
	s_mov_b32 s65, 0xbe3c28d5
	s_mov_b32 s69, 0xbf2c7751
	;; [unrolled: 1-line block ×4, first 2 shown]
	v_pk_add_f32 v[94:95], v[94:95], v[104:105]
	s_mov_b32 s44, s69
	s_mov_b32 s45, s65
	v_pk_mul_f32 v[104:105], v[46:47], s[48:49] op_sel_hi:[0,1]
	s_mov_b32 s56, 0x3f06c442
	v_pk_fma_f32 v[106:107], v[50:51], s[44:45], v[104:105] op_sel:[1,0,0]
	s_mov_b32 s57, 0x3f2c7751
	s_mov_b32 s52, s64
	s_mov_b32 s53, s68
	v_pk_add_f32 v[94:95], v[94:95], v[106:107]
	s_mov_b32 s48, s65
	s_mov_b32 s49, s57
	v_pk_mul_f32 v[106:107], v[32:33], s[52:53] op_sel_hi:[0,1]
	v_pk_fma_f32 v[108:109], v[48:49], s[48:49], v[106:107] op_sel:[1,0,0]
	s_mov_b32 s59, s13
	s_mov_b32 s55, s13
	;; [unrolled: 1-line block ×4, first 2 shown]
	v_pk_add_f32 v[94:95], v[94:95], v[108:109]
	s_mov_b32 s73, s10
	s_mov_b32 s62, s10
	;; [unrolled: 1-line block ×5, first 2 shown]
	v_pk_mul_f32 v[108:109], v[42:43], s[12:13] op_sel_hi:[0,1]
	v_pk_fma_f32 v[110:111], v[44:45], s[10:11], v[108:109] op_sel:[1,0,0]
	v_mul_u32_u24_e32 v9, 0x44, v0
	v_pk_add_f32 v[94:95], v[94:95], v[110:111]
	v_add3_u32 v62, 0, v9, v1
	s_mov_b32 s66, s16
	ds_write2_b32 v62, v95, v94 offset0:10 offset1:11
	s_mov_b32 s74, s64
	s_mov_b32 s75, s18
	;; [unrolled: 1-line block ×3, first 2 shown]
	v_pk_mul_f32 v[94:95], v[82:83], s[66:67] op_sel:[1,0]
	s_mov_b32 s60, s65
	s_mov_b32 s61, s56
	v_pk_fma_f32 v[110:111], v[60:61], s[50:51], v[94:95] op_sel:[1,0,0]
	v_pk_mul_f32 v[112:113], v[34:35], s[74:75] op_sel_hi:[0,1]
	v_pk_add_f32 v[110:111], v[80:81], v[110:111] op_sel:[1,0]
	v_pk_fma_f32 v[114:115], v[58:59], s[60:61], v[112:113] op_sel:[1,0,0]
	s_mov_b32 s71, s68
	v_pk_add_f32 v[110:111], v[110:111], v[114:115]
	s_mov_b32 s66, s27
	s_mov_b32 s67, s57
	v_pk_mul_f32 v[114:115], v[36:37], s[70:71] op_sel_hi:[0,1]
	v_pk_fma_f32 v[116:117], v[56:57], s[66:67], v[114:115] op_sel:[1,0,0]
	s_mov_b32 s70, 0x3eb8f4ab
	s_mov_b32 s74, s63
	;; [unrolled: 1-line block ×3, first 2 shown]
	v_pk_add_f32 v[110:111], v[110:111], v[116:117]
	s_mov_b32 s54, s70
	v_pk_mul_f32 v[116:117], v[38:39], s[74:75] op_sel_hi:[0,1]
	v_pk_fma_f32 v[118:119], v[54:55], s[54:55], v[116:117] op_sel:[1,0,0]
	s_mov_b32 s74, s12
	s_mov_b32 s75, s64
	v_pk_add_f32 v[110:111], v[110:111], v[118:119]
	s_mov_b32 s53, s65
	v_pk_mul_f32 v[118:119], v[40:41], s[74:75] op_sel_hi:[0,1]
	v_pk_fma_f32 v[120:121], v[52:53], s[52:53], v[118:119] op_sel:[1,0,0]
	s_mov_b32 s74, s18
	s_mov_b32 s75, s16
	v_pk_add_f32 v[110:111], v[110:111], v[120:121]
	s_mov_b32 s46, s19
	v_pk_mul_f32 v[120:121], v[46:47], s[74:75] op_sel_hi:[0,1]
	v_pk_fma_f32 v[122:123], v[50:51], s[46:47], v[120:121] op_sel:[1,0,0]
	s_mov_b32 s41, s21
	v_pk_add_f32 v[110:111], v[110:111], v[122:123]
	v_pk_mul_f32 v[122:123], v[46:47], s[62:63] op_sel_hi:[0,1]
	s_mov_b32 s62, s20
	v_pk_mul_f32 v[124:125], v[32:33], s[62:63] op_sel_hi:[0,1]
	v_pk_fma_f32 v[126:127], v[48:49], s[40:41], v[124:125] op_sel:[1,0,0]
	s_mov_b32 s74, s68
	s_mov_b32 s75, s20
	v_pk_add_f32 v[110:111], v[110:111], v[126:127]
	s_mov_b32 s28, s57
	v_pk_mul_f32 v[126:127], v[42:43], s[74:75] op_sel_hi:[0,1]
	v_pk_fma_f32 v[128:129], v[44:45], s[28:29], v[126:127] op_sel:[1,0,0]
	s_mov_b32 s76, s68
	v_pk_add_f32 v[110:111], v[110:111], v[128:129]
	s_mov_b32 s77, s12
	ds_write2_b32 v62, v111, v110 offset0:12 offset1:13
	s_mov_b32 s74, s16
	s_mov_b32 s58, s69
	v_pk_mul_f32 v[110:111], v[82:83], s[76:77] op_sel:[1,0]
	v_pk_mul_f32 v[130:131], v[34:35], s[74:75] op_sel_hi:[0,1]
	v_pk_fma_f32 v[128:129], v[60:61], s[58:59], v[110:111] op_sel:[1,0,0]
	v_pk_fma_f32 v[132:133], v[58:59], s[22:23], v[130:131] op_sel:[1,0,0]
	v_pk_add_f32 v[128:129], v[80:81], v[128:129] op_sel:[1,0]
	s_mov_b32 s74, s20
	s_mov_b32 s75, s64
	v_pk_add_f32 v[128:129], v[128:129], v[132:133]
	s_mov_b32 s25, 0x3e3c28d5
	v_pk_mul_f32 v[132:133], v[36:37], s[74:75] op_sel_hi:[0,1]
	v_pk_fma_f32 v[134:135], v[56:57], s[24:25], v[132:133] op_sel:[1,0,0]
	s_mov_b32 s72, s64
	v_pk_add_f32 v[128:129], v[128:129], v[134:135]
	s_mov_b32 s26, s65
	v_pk_mul_f32 v[134:135], v[38:39], s[72:73] op_sel_hi:[0,1]
	v_pk_fma_f32 v[136:137], v[54:55], s[26:27], v[134:135] op_sel:[1,0,0]
	s_mov_b32 s72, s18
	s_mov_b32 s73, s68
	v_pk_add_f32 v[128:129], v[128:129], v[136:137]
	v_pk_mul_f32 v[136:137], v[40:41], s[72:73] op_sel_hi:[0,1]
	v_pk_fma_f32 v[138:139], v[52:53], s[56:57], v[136:137] op_sel:[1,0,0]
	s_mov_b32 s20, s27
	v_pk_add_f32 v[128:129], v[128:129], v[138:139]
	v_pk_fma_f32 v[138:139], v[50:51], s[20:21], v[122:123] op_sel:[1,0,0]
	s_mov_b32 s13, s16
	v_pk_add_f32 v[128:129], v[128:129], v[138:139]
	v_pk_mul_f32 v[138:139], v[32:33], s[12:13] op_sel_hi:[0,1]
	v_pk_fma_f32 v[140:141], v[48:49], s[14:15], v[138:139] op_sel:[1,0,0]
	s_mov_b32 s12, s63
	s_mov_b32 s13, s18
	v_pk_add_f32 v[128:129], v[128:129], v[140:141]
	s_mov_b32 s71, s19
	v_pk_mul_f32 v[140:141], v[42:43], s[12:13] op_sel_hi:[0,1]
	v_pk_fma_f32 v[142:143], v[44:45], s[70:71], v[140:141] op_sel:[1,0,0]
	v_mov_b32_e32 v153, 0x3f6eb680
	v_pk_add_f32 v[128:129], v[128:129], v[142:143]
	ds_write2_b32 v62, v129, v128 offset0:14 offset1:15
	v_mov_b32_e32 v30, v129
	v_mov_b32_e32 v128, v34
	;; [unrolled: 1-line block ×4, first 2 shown]
	v_mul_f32_e32 v155, 0xbeb8f4ab, v61
	v_mov_b32_e32 v154, v12
	v_pk_mul_f32 v[142:143], v[128:129], s[68:69]
	v_pk_fma_f32 v[152:153], v[82:83], v[152:153], v[154:155] neg_lo:[0,0,1] neg_hi:[0,0,1]
	v_pk_add_f32 v[154:155], v[82:83], v[28:29]
	v_mov_b32_e32 v9, v142
	v_pk_add_f32 v[154:155], v[154:155], v[12:13]
	v_pk_fma_f32 v[128:129], v[128:129], s[68:69], v[8:9] neg_lo:[1,0,0] neg_hi:[1,0,0]
	v_mov_b32_e32 v155, v153
	v_pk_add_f32 v[152:153], v[154:155], v[80:81]
	v_mov_b32_e32 v128, v16
	v_mov_b32_e32 v144, v32
	;; [unrolled: 1-line block ×3, first 2 shown]
	v_pk_add_f32 v[128:129], v[128:129], v[152:153]
	v_mov_b32_e32 v84, v14
	v_pk_mul_f32 v[146:147], v[144:145], s[18:19]
	v_mov_b32_e32 v148, v42
	v_mov_b32_e32 v149, v45
	v_pk_add_f32 v[84:85], v[84:85], v[128:129]
	v_mov_b32_e32 v86, v26
	v_mov_b32_e32 v9, v146
	v_pk_mul_f32 v[150:151], v[148:149], s[64:65]
	v_pk_add_f32 v[84:85], v[86:87], v[84:85]
	v_mov_b32_e32 v88, v22
	v_pk_fma_f32 v[144:145], v[144:145], s[18:19], v[8:9] neg_lo:[1,0,0] neg_hi:[1,0,0]
	v_mov_b32_e32 v9, v150
	v_pk_add_f32 v[84:85], v[88:89], v[84:85]
	v_mov_b32_e32 v90, v20
	v_pk_fma_f32 v[148:149], v[148:149], s[64:65], v[8:9] neg_lo:[1,0,0] neg_hi:[1,0,0]
	v_pk_add_f32 v[84:85], v[90:91], v[84:85]
	v_mov_b32_e32 v144, v18
	v_pk_add_f32 v[84:85], v[144:145], v[84:85]
	v_mov_b32_e32 v148, v10
	v_pk_add_f32 v[84:85], v[148:149], v[84:85]
	v_pk_fma_f32 v[86:87], v[60:61], s[58:59], v[110:111] op_sel:[1,0,0] neg_lo:[1,0,0] neg_hi:[1,0,0]
	ds_write2_b32 v62, v84, v85 offset1:1
	v_pk_fma_f32 v[84:85], v[58:59], s[22:23], v[130:131] op_sel:[1,0,0] neg_lo:[1,0,0] neg_hi:[1,0,0]
	v_pk_add_f32 v[86:87], v[80:81], v[86:87] op_sel:[1,0]
	v_mul_f32_e32 v10, 0x3f6eb680, v34
	v_pk_add_f32 v[84:85], v[86:87], v[84:85]
	v_pk_fma_f32 v[86:87], v[56:57], s[24:25], v[132:133] op_sel:[1,0,0] neg_lo:[1,0,0] neg_hi:[1,0,0]
	v_mul_f32_e32 v12, 0x3eb8f4ab, v59
	v_pk_add_f32 v[84:85], v[84:85], v[86:87]
	v_pk_fma_f32 v[86:87], v[54:55], s[26:27], v[134:135] op_sel:[1,0,0] neg_lo:[1,0,0] neg_hi:[1,0,0]
	;; [unrolled: 3-line block ×3, first 2 shown]
	v_fmac_f32_e32 v22, 0xbeb8f4ab, v61
	v_pk_add_f32 v[84:85], v[84:85], v[86:87]
	v_pk_fma_f32 v[86:87], v[50:51], s[20:21], v[122:123] op_sel:[1,0,0] neg_lo:[1,0,0] neg_hi:[1,0,0]
	v_add_f32_e32 v9, v143, v142
	v_pk_add_f32 v[84:85], v[84:85], v[86:87]
	v_pk_fma_f32 v[86:87], v[48:49], s[14:15], v[138:139] op_sel:[1,0,0] neg_lo:[1,0,0] neg_hi:[1,0,0]
	v_add_f32_e32 v6, v6, v22
	v_pk_add_f32 v[84:85], v[84:85], v[86:87]
	v_pk_fma_f32 v[86:87], v[44:45], s[70:71], v[140:141] op_sel:[1,0,0] neg_lo:[1,0,0] neg_hi:[1,0,0]
	v_add_f32_e32 v6, v6, v9
	v_pk_add_f32 v[84:85], v[84:85], v[86:87]
	v_pk_fma_f32 v[86:87], v[60:61], s[50:51], v[94:95] op_sel:[1,0,0] neg_lo:[1,0,0] neg_hi:[1,0,0]
	ds_write2_b32 v62, v84, v85 offset0:2 offset1:3
	v_pk_fma_f32 v[84:85], v[58:59], s[60:61], v[112:113] op_sel:[1,0,0] neg_lo:[1,0,0] neg_hi:[1,0,0]
	v_pk_add_f32 v[86:87], v[80:81], v[86:87] op_sel:[1,0]
	v_add_f32_e32 v14, v77, v76
	v_pk_add_f32 v[84:85], v[86:87], v[84:85]
	v_pk_fma_f32 v[86:87], v[56:57], s[66:67], v[114:115] op_sel:[1,0,0] neg_lo:[1,0,0] neg_hi:[1,0,0]
	v_add_f32_e32 v16, v79, v78
	v_pk_add_f32 v[84:85], v[84:85], v[86:87]
	v_pk_fma_f32 v[86:87], v[54:55], s[54:55], v[116:117] op_sel:[1,0,0] neg_lo:[1,0,0] neg_hi:[1,0,0]
	;; [unrolled: 3-line block ×4, first 2 shown]
	s_nop 0
	v_pk_add_f32 v[84:85], v[84:85], v[86:87]
	v_pk_fma_f32 v[86:87], v[48:49], s[40:41], v[124:125] op_sel:[1,0,0] neg_lo:[1,0,0] neg_hi:[1,0,0]
	s_nop 0
	v_pk_add_f32 v[84:85], v[84:85], v[86:87]
	v_pk_fma_f32 v[86:87], v[44:45], s[28:29], v[126:127] op_sel:[1,0,0] neg_lo:[1,0,0] neg_hi:[1,0,0]
	;; [unrolled: 3-line block ×3, first 2 shown]
	ds_write2_b32 v62, v84, v85 offset0:4 offset1:5
	v_pk_fma_f32 v[84:85], v[58:59], s[30:31], v[96:97] op_sel:[1,0,0] neg_lo:[1,0,0] neg_hi:[1,0,0]
	v_pk_add_f32 v[86:87], v[80:81], v[86:87] op_sel:[1,0]
	s_nop 0
	v_pk_add_f32 v[84:85], v[86:87], v[84:85]
	v_pk_fma_f32 v[86:87], v[56:57], s[36:37], v[98:99] op_sel:[1,0,0] neg_lo:[1,0,0] neg_hi:[1,0,0]
	s_nop 0
	v_pk_add_f32 v[84:85], v[84:85], v[86:87]
	v_pk_fma_f32 v[86:87], v[54:55], s[38:39], v[100:101] op_sel:[1,0,0] neg_lo:[1,0,0] neg_hi:[1,0,0]
	;; [unrolled: 3-line block ×6, first 2 shown]
	s_nop 0
	v_pk_add_f32 v[84:85], v[84:85], v[86:87]
	ds_write2_b32 v62, v84, v85 offset0:6 offset1:7
	v_pk_add_f32 v[84:85], v[10:11], v[12:13] neg_lo:[0,1] neg_hi:[0,1]
	v_pk_add_f32 v[86:87], v[10:11], v[12:13]
	v_mul_f32_e32 v10, 0xbf59a7d5, v36
	v_mul_f32_e32 v12, 0xbf06c442, v57
	v_mov_b32_e32 v85, v86
	v_pk_add_f32 v[86:87], v[10:11], v[12:13] neg_lo:[0,1] neg_hi:[0,1]
	v_pk_add_f32 v[88:89], v[10:11], v[12:13]
	v_mul_f32_e32 v10, 0x3f3d2fb0, v38
	v_mul_f32_e32 v12, 0x3f2c7751, v55
	v_mov_b32_e32 v87, v88
	;; [unrolled: 5-line block ×7, first 2 shown]
	v_pk_add_f32 v[98:99], v[12:13], v[10:11] neg_lo:[0,1] neg_hi:[0,1]
	v_pk_add_f32 v[100:101], v[12:13], v[10:11]
	v_add_f32_e32 v10, v73, v72
	v_mov_b32_e32 v99, v100
	v_pk_add_f32 v[80:81], v[80:81], v[98:99] op_sel:[1,0]
	v_add_f32_e32 v12, v75, v74
	v_pk_add_f32 v[80:81], v[80:81], v[84:85]
	v_add_f32_e32 v6, v6, v10
	v_pk_add_f32 v[80:81], v[80:81], v[86:87]
	;; [unrolled: 2-line block ×7, first 2 shown]
	ds_write2_b32 v62, v80, v81 offset0:8 offset1:9
	ds_write_b32 v62, v6 offset:64
.LBB0_14:
	s_or_b64 exec, exec, s[4:5]
	v_lshlrev_b32_e32 v14, 2, v0
	v_add_u32_e32 v80, 0, v14
	v_add3_u32 v9, 0, v1, v14
	v_add_u32_e32 v77, v80, v1
	s_waitcnt lgkmcnt(0)
	s_barrier
	ds_read_b32 v12, v9
	ds_read2_b32 v[72:73], v77 offset0:17 offset1:34
	ds_read2_b32 v[74:75], v77 offset0:51 offset1:68
	s_waitcnt lgkmcnt(0)
	s_barrier
	s_and_saveexec_b64 s[4:5], s[0:1]
	s_cbranch_execz .LBB0_16
; %bb.15:
	v_mov_b32_e32 v6, v63
	v_pk_add_f32 v[62:63], v[6:7], v[24:25]
	s_mov_b32 s12, 0x3f3d2fb0
	v_pk_add_f32 v[62:63], v[62:63], v[70:71]
	s_mov_b32 s13, 0xbf2c7751
	;; [unrolled: 2-line block ×4, first 2 shown]
	v_pk_add_f32 v[62:63], v[62:63], v[64:65]
	v_mov_b32_e32 v64, v35
	v_mov_b32_e32 v65, v58
	v_pk_mul_f32 v[66:67], v[64:65], s[12:13]
	s_mov_b32 s17, 0xbf7ee86f
	v_mov_b32_e32 v69, v66
	v_pk_fma_f32 v[82:83], v[64:65], s[12:13], v[68:69]
	v_mov_b32_e32 v64, v37
	v_mov_b32_e32 v65, v56
	v_sub_f32_e32 v81, v66, v67
	v_pk_mul_f32 v[66:67], v[64:65], s[0:1]
	s_mov_b32 s16, 0x3dbcf732
	v_mov_b32_e32 v69, v66
	v_pk_fma_f32 v[84:85], v[64:65], s[0:1], v[68:69]
	v_mov_b32_e32 v64, v39
	v_mov_b32_e32 v65, v54
	v_sub_f32_e32 v98, v66, v67
	v_pk_mul_f32 v[66:67], v[64:65], s[16:17]
	s_mov_b32 s22, 0xbe8c1d8e
	v_mov_b32_e32 v69, v66
	v_pk_fma_f32 v[86:87], v[64:65], s[16:17], v[68:69]
	v_mov_b32_e32 v64, v41
	v_mov_b32_e32 v65, v52
	s_mov_b32 s23, 0xbf763a35
	v_sub_f32_e32 v99, v66, v67
	v_pk_mul_f32 v[66:67], v[64:65], s[22:23]
	s_mov_b32 s20, 0xbf59a7d5
	v_mov_b32_e32 v69, v66
	v_sub_f32_e32 v100, v66, v67
	s_mov_b32 s24, 0xbf1a4643
	s_mov_b32 s25, 0xbf4c4adb
	v_mov_b32_e32 v66, v47
	v_mov_b32_e32 v67, v50
	s_mov_b32 s21, 0xbf06c442
	v_pk_fma_f32 v[88:89], v[64:65], s[22:23], v[68:69]
	v_pk_mul_f32 v[68:69], v[66:67], s[24:25]
	v_mov_b32_e32 v78, v33
	v_mov_b32_e32 v79, v48
	v_mul_f32_e32 v64, 0xbf4c4adb, v52
	v_mov_b32_e32 v65, v68
	v_pk_mul_f32 v[92:93], v[78:79], s[20:21]
	v_pk_fma_f32 v[90:91], v[66:67], s[24:25], v[64:65]
	v_mov_b32_e32 v65, v92
	v_mov_b32_e32 v24, v63
	;; [unrolled: 1-line block ×3, first 2 shown]
	v_pk_fma_f32 v[94:95], v[78:79], s[20:21], v[64:65]
	v_pk_add_f32 v[78:79], v[24:25], v[10:11]
	v_mov_b32_e32 v25, 0x3f6eb680
	v_mov_b32_e32 v24, v29
	v_pk_add_f32 v[96:97], v[78:79], v[24:25]
	v_pk_mul_f32 v[24:25], v[78:79], v[24:25]
	v_mul_f32_e32 v71, 0xbeb8f4ab, v60
	v_mov_b32_e32 v97, v25
	v_fmac_f32_e32 v25, 0x3eb8f4ab, v60
	v_mov_b32_e32 v70, v13
	v_add_f32_e32 v10, v7, v25
	v_pk_add_f32 v[70:71], v[96:97], v[70:71]
	v_add_f32_e32 v10, v10, v81
	v_pk_add_f32 v[70:71], v[70:71], v[6:7]
	v_mov_b32_e32 v82, v17
	v_add_f32_e32 v10, v10, v98
	s_mov_b32 s10, 0xbf7ba420
	v_pk_add_f32 v[70:71], v[82:83], v[70:71]
	v_mov_b32_e32 v84, v15
	v_add_f32_e32 v10, v10, v99
	s_mov_b32 s11, 0xbe3c28d5
	v_sub_f32_e32 v67, v68, v69
	v_pk_add_f32 v[70:71], v[84:85], v[70:71]
	v_mov_b32_e32 v86, v27
	v_add_f32_e32 v10, v10, v100
	v_mov_b32_e32 v84, v43
	v_mov_b32_e32 v85, v44
	v_pk_add_f32 v[70:71], v[86:87], v[70:71]
	v_mov_b32_e32 v88, v23
	v_add_f32_e32 v10, v10, v67
	v_sub_f32_e32 v13, v92, v93
	v_pk_mul_f32 v[86:87], v[84:85], s[10:11]
	v_pk_add_f32 v[70:71], v[88:89], v[70:71]
	v_mov_b32_e32 v90, v21
	v_add_f32_e32 v15, v10, v13
	v_mov_b32_e32 v13, v86
	v_pk_add_f32 v[70:71], v[90:91], v[70:71]
	v_mov_b32_e32 v94, v19
	v_pk_fma_f32 v[84:85], v[84:85], s[10:11], v[12:13]
	v_pk_add_f32 v[82:83], v[94:95], v[70:71]
	v_mov_b32_e32 v84, v11
	s_mov_b32 s34, s13
	s_mov_b32 s35, s1
	v_pk_add_f32 v[10:11], v[84:85], v[82:83]
	v_pk_mul_f32 v[82:83], v[60:61], s[34:35] op_sel_hi:[0,1]
	s_mov_b32 s34, s17
	s_mov_b32 s35, s25
	;; [unrolled: 1-line block ×6, first 2 shown]
	v_pk_mul_f32 v[84:85], v[58:59], s[34:35] op_sel_hi:[0,1]
	s_mov_b32 s35, 0x3e3c28d5
	s_mov_b32 s34, s25
	v_pk_fma_f32 v[104:105], v[78:79], s[44:45], v[82:83] op_sel:[1,0,0]
	v_sub_f32_e32 v13, v86, v87
	v_pk_fma_f32 v[86:87], v[34:35], s[36:37], v[84:85] op_sel:[1,0,0]
	s_mov_b32 s38, s24
	s_mov_b32 s39, s10
	v_pk_mul_f32 v[88:89], v[56:57], s[34:35] op_sel_hi:[0,1]
	s_mov_b32 s35, 0x3f763a35
	s_mov_b32 s34, s11
	v_pk_add_f32 v[104:105], v[6:7], v[104:105] op_sel:[1,0]
	s_mov_b32 s27, 0x3f2c7751
	v_pk_fma_f32 v[90:91], v[36:37], s[38:39], v[88:89] op_sel:[1,0,0]
	s_mov_b32 s40, s10
	s_mov_b32 s41, s22
	v_pk_mul_f32 v[92:93], v[54:55], s[34:35] op_sel_hi:[0,1]
	s_mov_b32 s26, 0x3f06c442
	v_pk_add_f32 v[86:87], v[104:105], v[86:87]
	s_mov_b32 s15, 0xbeb8f4ab
	v_pk_fma_f32 v[94:95], v[38:39], s[40:41], v[92:93] op_sel:[1,0,0]
	s_mov_b32 s42, s20
	s_mov_b32 s43, s12
	v_pk_mul_f32 v[96:97], v[52:53], s[26:27] op_sel_hi:[0,1]
	s_mov_b32 s14, s35
	v_pk_add_f32 v[86:87], v[86:87], v[90:91]
	s_mov_b32 s19, 0x3f6eb680
	s_mov_b32 s28, 0x3f65296c
	v_pk_fma_f32 v[98:99], v[40:41], s[42:43], v[96:97] op_sel:[1,0,0]
	s_mov_b32 s18, s22
	v_pk_mul_f32 v[100:101], v[50:51], s[14:15] op_sel_hi:[0,1]
	v_pk_add_f32 v[86:87], v[86:87], v[94:95]
	s_mov_b32 s29, s17
	v_pk_fma_f32 v[82:83], v[78:79], s[44:45], v[82:83] op_sel:[1,0,0] neg_lo:[0,0,1] neg_hi:[0,0,1]
	v_pk_fma_f32 v[102:103], v[46:47], s[18:19], v[100:101] op_sel:[1,0,0]
	v_pk_add_f32 v[86:87], v[86:87], v[98:99]
	s_mov_b32 s46, s0
	s_mov_b32 s47, s16
	v_pk_mul_f32 v[90:91], v[48:49], s[28:29] op_sel_hi:[0,1]
	v_pk_fma_f32 v[84:85], v[34:35], s[36:37], v[84:85] op_sel:[1,0,0] neg_lo:[0,0,1] neg_hi:[0,0,1]
	v_pk_add_f32 v[82:83], v[6:7], v[82:83] op_sel:[1,0]
	s_mov_b32 s30, 0x3eb8f4ab
	v_pk_add_f32 v[86:87], v[86:87], v[102:103]
	v_pk_fma_f32 v[94:95], v[32:33], s[46:47], v[90:91] op_sel:[1,0,0]
	s_mov_b32 s31, s21
	v_pk_fma_f32 v[88:89], v[36:37], s[38:39], v[88:89] op_sel:[1,0,0] neg_lo:[0,0,1] neg_hi:[0,0,1]
	v_pk_add_f32 v[82:83], v[82:83], v[84:85]
	v_pk_add_f32 v[86:87], v[86:87], v[94:95]
	s_mov_b32 s48, s19
	s_mov_b32 s49, s20
	v_pk_mul_f32 v[94:95], v[44:45], s[30:31] op_sel_hi:[0,1]
	v_pk_fma_f32 v[92:93], v[38:39], s[40:41], v[92:93] op_sel:[1,0,0] neg_lo:[0,0,1] neg_hi:[0,0,1]
	v_pk_add_f32 v[82:83], v[82:83], v[88:89]
	v_pk_fma_f32 v[98:99], v[42:43], s[48:49], v[94:95] op_sel:[1,0,0]
	v_pk_fma_f32 v[96:97], v[40:41], s[42:43], v[96:97] op_sel:[1,0,0] neg_lo:[0,0,1] neg_hi:[0,0,1]
	v_pk_add_f32 v[82:83], v[82:83], v[92:93]
	v_pk_add_f32 v[86:87], v[86:87], v[98:99]
	v_pk_fma_f32 v[98:99], v[46:47], s[18:19], v[100:101] op_sel:[1,0,0] neg_lo:[0,0,1] neg_hi:[0,0,1]
	v_pk_add_f32 v[82:83], v[82:83], v[96:97]
	v_pk_fma_f32 v[84:85], v[32:33], s[46:47], v[90:91] op_sel:[1,0,0] neg_lo:[0,0,1] neg_hi:[0,0,1]
	v_pk_add_f32 v[82:83], v[82:83], v[98:99]
	s_mov_b32 s36, s17
	v_pk_add_f32 v[82:83], v[82:83], v[84:85]
	v_pk_fma_f32 v[84:85], v[42:43], s[48:49], v[94:95] op_sel:[1,0,0] neg_lo:[0,0,1] neg_hi:[0,0,1]
	s_mov_b32 s37, s23
	v_pk_add_f32 v[82:83], v[82:83], v[84:85]
	v_pk_mul_f32 v[84:85], v[60:61], s[36:37] op_sel_hi:[0,1]
	s_mov_b32 s38, s11
	s_mov_b32 s39, s26
	;; [unrolled: 1-line block ×6, first 2 shown]
	v_pk_mul_f32 v[88:89], v[58:59], s[38:39] op_sel_hi:[0,1]
	s_mov_b32 s26, s35
	v_pk_fma_f32 v[108:109], v[78:79], s[46:47], v[84:85] op_sel:[1,0,0]
	v_pk_fma_f32 v[90:91], v[34:35], s[36:37], v[88:89] op_sel:[1,0,0]
	s_mov_b32 s38, s22
	s_mov_b32 s39, s12
	v_pk_mul_f32 v[92:93], v[56:57], s[26:27] op_sel_hi:[0,1]
	s_mov_b32 s31, s1
	v_pk_add_f32 v[108:109], v[6:7], v[108:109] op_sel:[1,0]
	v_pk_fma_f32 v[94:95], v[36:37], s[38:39], v[92:93] op_sel:[1,0,0]
	s_mov_b32 s40, s19
	s_mov_b32 s41, s0
	v_pk_mul_f32 v[96:97], v[54:55], s[30:31] op_sel_hi:[0,1]
	s_mov_b32 s42, s1
	s_mov_b32 s43, s11
	v_pk_add_f32 v[90:91], v[108:109], v[90:91]
	v_pk_fma_f32 v[98:99], v[38:39], s[40:41], v[96:97] op_sel:[1,0,0]
	s_mov_b32 s30, s0
	s_mov_b32 s31, s10
	v_pk_mul_f32 v[100:101], v[52:53], s[42:43] op_sel_hi:[0,1]
	s_mov_b32 s45, 0x3f7ee86f
	s_mov_b32 s44, s21
	v_pk_add_f32 v[90:91], v[90:91], v[94:95]
	v_pk_fma_f32 v[102:103], v[40:41], s[30:31], v[100:101] op_sel:[1,0,0]
	s_mov_b32 s42, s20
	s_mov_b32 s43, s16
	v_pk_mul_f32 v[104:105], v[50:51], s[44:45] op_sel_hi:[0,1]
	v_pk_add_f32 v[90:91], v[90:91], v[98:99]
	s_mov_b32 s14, 0x3f4c4adb
	v_pk_fma_f32 v[84:85], v[78:79], s[46:47], v[84:85] op_sel:[1,0,0] neg_lo:[0,0,1] neg_hi:[0,0,1]
	v_pk_fma_f32 v[106:107], v[46:47], s[42:43], v[104:105] op_sel:[1,0,0]
	v_pk_add_f32 v[90:91], v[90:91], v[102:103]
	s_mov_b32 s18, s24
	v_pk_mul_f32 v[94:95], v[48:49], s[14:15] op_sel_hi:[0,1]
	v_pk_fma_f32 v[88:89], v[34:35], s[36:37], v[88:89] op_sel:[1,0,0] neg_lo:[0,0,1] neg_hi:[0,0,1]
	v_pk_add_f32 v[84:85], v[6:7], v[84:85] op_sel:[1,0]
	v_pk_add_f32 v[90:91], v[90:91], v[106:107]
	v_pk_fma_f32 v[98:99], v[32:33], s[18:19], v[94:95] op_sel:[1,0,0]
	s_mov_b32 s50, s27
	s_mov_b32 s51, s25
	v_pk_fma_f32 v[92:93], v[36:37], s[38:39], v[92:93] op_sel:[1,0,0] neg_lo:[0,0,1] neg_hi:[0,0,1]
	v_pk_add_f32 v[84:85], v[84:85], v[88:89]
	v_pk_add_f32 v[90:91], v[90:91], v[98:99]
	s_mov_b32 s48, s12
	s_mov_b32 s49, s24
	v_pk_mul_f32 v[98:99], v[44:45], s[50:51] op_sel_hi:[0,1]
	v_pk_fma_f32 v[96:97], v[38:39], s[40:41], v[96:97] op_sel:[1,0,0] neg_lo:[0,0,1] neg_hi:[0,0,1]
	v_pk_add_f32 v[84:85], v[84:85], v[92:93]
	v_pk_fma_f32 v[102:103], v[42:43], s[48:49], v[98:99] op_sel:[1,0,0]
	v_pk_fma_f32 v[100:101], v[40:41], s[30:31], v[100:101] op_sel:[1,0,0] neg_lo:[0,0,1] neg_hi:[0,0,1]
	v_pk_add_f32 v[84:85], v[84:85], v[96:97]
	s_mov_b32 s34, s35
	s_mov_b32 s35, s28
	v_mul_f32_e32 v20, 0x3eb8f4ab, v58
	v_pk_add_f32 v[90:91], v[90:91], v[102:103]
	v_pk_fma_f32 v[102:103], v[46:47], s[42:43], v[104:105] op_sel:[1,0,0] neg_lo:[0,0,1] neg_hi:[0,0,1]
	v_pk_add_f32 v[84:85], v[84:85], v[100:101]
	v_pk_fma_f32 v[88:89], v[32:33], s[18:19], v[94:95] op_sel:[1,0,0] neg_lo:[0,0,1] neg_hi:[0,0,1]
	s_mov_b32 s30, s25
	s_mov_b32 s31, s21
	v_pk_mul_f32 v[58:59], v[58:59], s[34:35] op_sel_hi:[0,1]
	s_mov_b32 s34, s19
	s_mov_b32 s37, s17
	;; [unrolled: 1-line block ×7, first 2 shown]
	v_mul_f32_e32 v16, 0xbe3c28d5, v60
	v_mul_f32_e32 v68, 0x3f65296c, v50
	v_pk_add_f32 v[84:85], v[84:85], v[102:103]
	v_pk_mul_f32 v[60:61], v[60:61], s[30:31] op_sel_hi:[0,1]
	s_mov_b32 s36, s15
	v_pk_mul_f32 v[52:53], v[52:53], s[14:15] op_sel_hi:[0,1]
	s_mov_b32 s14, s12
	s_mov_b32 s15, s10
	v_pk_mul_f32 v[50:51], v[50:51], s[18:19] op_sel_hi:[0,1]
	s_mov_b32 s25, s20
	v_mul_f32_e32 v66, 0x3ee437d1, v47
	v_pk_add_f32 v[84:85], v[84:85], v[88:89]
	v_pk_fma_f32 v[88:89], v[42:43], s[48:49], v[98:99] op_sel:[1,0,0] neg_lo:[0,0,1] neg_hi:[0,0,1]
	s_mov_b32 s30, s22
	s_mov_b32 s31, s0
	v_pk_fma_f32 v[98:99], v[46:47], s[14:15], v[50:51] op_sel:[1,0,0]
	v_pk_fma_f32 v[46:47], v[46:47], s[14:15], v[50:51] op_sel:[1,0,0] neg_lo:[0,0,1] neg_hi:[0,0,1]
	v_pk_fma_f32 v[50:51], v[78:79], s[24:25], v[60:61] op_sel:[1,0,0] neg_lo:[0,0,1] neg_hi:[0,0,1]
	v_mul_f32_e32 v18, 0x3f6eb680, v35
	v_mul_f32_e32 v26, 0xbf06c442, v56
	v_pk_add_f32 v[84:85], v[84:85], v[88:89]
	v_pk_fma_f32 v[88:89], v[34:35], s[30:31], v[58:59] op_sel:[1,0,0]
	s_mov_b32 s35, s16
	v_pk_mul_f32 v[56:57], v[56:57], s[36:37] op_sel_hi:[0,1]
	s_mov_b32 s38, s21
	v_pk_fma_f32 v[34:35], v[34:35], s[30:31], v[58:59] op_sel:[1,0,0] neg_lo:[0,0,1] neg_hi:[0,0,1]
	v_pk_add_f32 v[50:51], v[6:7], v[50:51] op_sel:[1,0]
	v_mul_f32_e32 v22, 0xbf59a7d5, v37
	v_mul_f32_e32 v30, 0x3f2c7751, v54
	v_pk_fma_f32 v[92:93], v[36:37], s[34:35], v[56:57] op_sel:[1,0,0]
	s_mov_b32 s36, s20
	s_mov_b32 s37, s24
	v_pk_mul_f32 v[54:55], v[54:55], s[38:39] op_sel_hi:[0,1]
	v_pk_fma_f32 v[36:37], v[36:37], s[34:35], v[56:57] op_sel:[1,0,0] neg_lo:[0,0,1] neg_hi:[0,0,1]
	v_pk_add_f32 v[34:35], v[50:51], v[34:35]
	v_mul_f32_e32 v28, 0x3f3d2fb0, v39
	v_pk_fma_f32 v[94:95], v[38:39], s[36:37], v[54:55] op_sel:[1,0,0]
	v_pk_fma_f32 v[38:39], v[38:39], s[36:37], v[54:55] op_sel:[1,0,0] neg_lo:[0,0,1] neg_hi:[0,0,1]
	v_pk_add_f32 v[34:35], v[34:35], v[36:37]
	v_mul_f32_e32 v62, 0xbf1a4643, v41
	v_pk_add_f32 v[34:35], v[34:35], v[38:39]
	v_pk_add_f32 v[38:39], v[18:19], v[20:21]
	v_pk_add_f32 v[18:19], v[18:19], v[20:21] neg_lo:[0,1] neg_hi:[0,1]
	v_pk_add_f32 v[20:21], v[22:23], v[26:27] neg_lo:[0,1] neg_hi:[0,1]
	v_mov_b32_e32 v39, v18
	v_pk_add_f32 v[18:19], v[22:23], v[26:27]
	v_pk_add_f32 v[22:23], v[28:29], v[30:31] neg_lo:[0,1] neg_hi:[0,1]
	v_mov_b32_e32 v19, v20
	v_pk_add_f32 v[20:21], v[28:29], v[30:31]
	v_pk_fma_f32 v[100:101], v[78:79], s[24:25], v[60:61] op_sel:[1,0,0]
	v_mov_b32_e32 v21, v22
	v_pk_add_f32 v[22:23], v[62:63], v[64:65]
	v_pk_add_f32 v[26:27], v[62:63], v[64:65] neg_lo:[0,1] neg_hi:[0,1]
	v_mul_f32_e32 v76, 0xbf7ba420, v79
	v_pk_add_f32 v[100:101], v[6:7], v[100:101] op_sel:[1,0]
	v_mov_b32_e32 v23, v26
	v_pk_add_f32 v[26:27], v[66:67], v[68:69]
	v_pk_add_f32 v[28:29], v[66:67], v[68:69] neg_lo:[0,1] neg_hi:[0,1]
	v_pk_add_f32 v[88:89], v[100:101], v[88:89]
	v_mov_b32_e32 v27, v28
	v_pk_add_f32 v[28:29], v[76:77], v[16:17]
	v_pk_add_f32 v[16:17], v[76:77], v[16:17] neg_lo:[0,1] neg_hi:[0,1]
	v_pk_add_f32 v[88:89], v[88:89], v[92:93]
	v_mov_b32_e32 v29, v16
	v_pk_fma_f32 v[96:97], v[40:41], s[16:17], v[52:53] op_sel:[1,0,0]
	v_pk_add_f32 v[88:89], v[88:89], v[94:95]
	s_mov_b32 s26, s11
	v_pk_add_f32 v[6:7], v[6:7], v[28:29] op_sel:[1,0]
	v_mul_f32_e32 v70, 0xbf763a35, v48
	v_pk_add_f32 v[88:89], v[88:89], v[96:97]
	s_mov_b32 s18, s10
	s_mov_b32 s19, s12
	v_pk_mul_f32 v[48:49], v[48:49], s[26:27] op_sel_hi:[0,1]
	v_pk_fma_f32 v[40:41], v[40:41], s[16:17], v[52:53] op_sel:[1,0,0] neg_lo:[0,0,1] neg_hi:[0,0,1]
	v_pk_add_f32 v[6:7], v[6:7], v[38:39]
	v_pk_add_f32 v[88:89], v[88:89], v[98:99]
	v_pk_fma_f32 v[92:93], v[32:33], s[18:19], v[48:49] op_sel:[1,0,0]
	s_mov_b32 s29, s23
	v_pk_add_f32 v[34:35], v[34:35], v[40:41]
	v_pk_add_f32 v[6:7], v[6:7], v[18:19]
	v_mul_f32_e32 v24, 0xbe8c1d8e, v33
	v_pk_add_f32 v[88:89], v[88:89], v[92:93]
	s_mov_b32 s1, s22
	v_pk_mul_f32 v[92:93], v[44:45], s[28:29] op_sel_hi:[0,1]
	v_pk_add_f32 v[34:35], v[34:35], v[46:47]
	v_pk_fma_f32 v[32:33], v[32:33], s[18:19], v[48:49] op_sel:[1,0,0] neg_lo:[0,0,1] neg_hi:[0,0,1]
	v_pk_add_f32 v[6:7], v[6:7], v[20:21]
	v_pk_add_f32 v[32:33], v[34:35], v[32:33]
	v_pk_fma_f32 v[34:35], v[42:43], s[0:1], v[92:93] op_sel:[1,0,0] neg_lo:[0,0,1] neg_hi:[0,0,1]
	v_pk_add_f32 v[6:7], v[6:7], v[22:23]
	v_pk_add_f32 v[16:17], v[24:25], v[70:71]
	v_pk_add_f32 v[18:19], v[24:25], v[70:71] neg_lo:[0,1] neg_hi:[0,1]
	v_pk_add_f32 v[32:33], v[32:33], v[34:35]
	v_mul_f32_e32 v34, 0x3dbcf732, v43
	v_mul_f32_e32 v36, 0x3f7ee86f, v44
	v_pk_add_f32 v[6:7], v[6:7], v[26:27]
	v_mov_b32_e32 v17, v18
	v_pk_add_f32 v[6:7], v[6:7], v[16:17]
	v_pk_add_f32 v[16:17], v[34:35], v[36:37]
	v_pk_add_f32 v[18:19], v[34:35], v[36:37] neg_lo:[0,1] neg_hi:[0,1]
	v_lshlrev_b32_e32 v0, 6, v0
	v_add_f32_e32 v13, v15, v13
	v_pk_fma_f32 v[94:95], v[42:43], s[0:1], v[92:93] op_sel:[1,0,0]
	v_mov_b32_e32 v17, v18
	v_add3_u32 v15, v80, v0, v1
	v_pk_add_f32 v[88:89], v[88:89], v[94:95]
	v_pk_add_f32 v[6:7], v[6:7], v[16:17]
	ds_write2_b32 v15, v10, v11 offset1:1
	ds_write2_b32 v15, v86, v87 offset0:2 offset1:3
	ds_write2_b32 v15, v90, v91 offset0:4 offset1:5
	;; [unrolled: 1-line block ×7, first 2 shown]
	ds_write_b32 v15, v13 offset:64
.LBB0_16:
	s_or_b64 exec, exec, s[4:5]
	s_waitcnt lgkmcnt(0)
	s_barrier
	s_and_saveexec_b64 s[0:1], vcc
	s_cbranch_execz .LBB0_18
; %bb.17:
	v_mov_b32_e32 v15, 0
	v_lshl_add_u64 v[0:1], v[14:15], 3, s[8:9]
	global_load_dwordx4 v[16:19], v[0:1], off
	global_load_dwordx4 v[20:23], v[0:1], off offset:16
	v_mul_lo_u32 v11, s3, v4
	v_mul_lo_u32 v25, s2, v5
	v_mad_u64_u32 v[0:1], s[0:1], s2, v4, 0
	ds_read2_b32 v[4:5], v77 offset0:17 offset1:34
	ds_read2_b32 v[6:7], v77 offset0:51 offset1:68
	ds_read_b32 v13, v9
	v_add3_u32 v1, v1, v25, v11
	v_lshl_add_u64 v[0:1], v[0:1], 3, s[6:7]
	v_mov_b32_e32 v9, v15
	v_lshl_add_u64 v[0:1], v[2:3], 3, v[0:1]
	v_lshl_add_u64 v[0:1], v[8:9], 3, v[0:1]
	s_waitcnt lgkmcnt(2)
	v_mov_b32_e32 v2, v5
	s_waitcnt lgkmcnt(1)
	v_mov_b32_e32 v8, v7
	v_mov_b32_e32 v10, v73
	;; [unrolled: 1-line block ×5, first 2 shown]
	s_mov_b32 s0, 0x3f737871
	s_mov_b32 s2, 0x3f167918
	;; [unrolled: 1-line block ×3, first 2 shown]
	s_waitcnt vmcnt(1)
	v_mov_b32_e32 v28, v19
	v_mov_b32_e32 v29, v18
	v_pk_mul_f32 v[4:5], v[4:5], v[16:17] op_sel:[0,1] op_sel_hi:[0,0]
	s_waitcnt vmcnt(0)
	v_pk_mul_f32 v[6:7], v[6:7], v[20:21] op_sel:[0,1] op_sel_hi:[0,0]
	v_mov_b32_e32 v30, v23
	v_mov_b32_e32 v31, v22
	v_pk_mul_f32 v[2:3], v[2:3], v[28:29] op_sel_hi:[0,1]
	v_pk_fma_f32 v[28:29], v[72:73], v[16:17], v[4:5] neg_lo:[0,0,1] neg_hi:[0,0,1]
	v_pk_fma_f32 v[4:5], v[72:73], v[16:17], v[4:5] op_sel_hi:[0,1,1]
	v_pk_fma_f32 v[16:17], v[74:75], v[20:21], v[6:7] neg_lo:[0,0,1] neg_hi:[0,0,1]
	v_pk_fma_f32 v[6:7], v[74:75], v[20:21], v[6:7] op_sel_hi:[0,1,1]
	v_pk_mul_f32 v[8:9], v[8:9], v[30:31] op_sel_hi:[0,1]
	v_pk_fma_f32 v[10:11], v[10:11], v[18:19], v[2:3] neg_lo:[0,0,1] neg_hi:[0,0,1]
	v_pk_fma_f32 v[2:3], v[14:15], v[18:19], v[2:3] op_sel_hi:[0,1,1]
	v_mov_b32_e32 v29, v5
	v_mov_b32_e32 v17, v7
	v_pk_fma_f32 v[4:5], v[24:25], v[22:23], v[8:9] neg_lo:[0,0,1] neg_hi:[0,0,1]
	v_pk_fma_f32 v[6:7], v[26:27], v[22:23], v[8:9] op_sel_hi:[0,1,1]
	v_mov_b32_e32 v11, v3
	v_mov_b32_e32 v5, v7
	s_waitcnt lgkmcnt(0)
	v_pk_add_f32 v[2:3], v[12:13], v[28:29]
	v_pk_add_f32 v[6:7], v[10:11], v[16:17]
	;; [unrolled: 1-line block ×3, first 2 shown]
	v_pk_add_f32 v[8:9], v[28:29], v[4:5] neg_lo:[0,1] neg_hi:[0,1]
	v_pk_add_f32 v[14:15], v[10:11], v[16:17] neg_lo:[0,1] neg_hi:[0,1]
	;; [unrolled: 1-line block ×4, first 2 shown]
	v_pk_add_f32 v[24:25], v[28:29], v[4:5]
	v_pk_add_f32 v[2:3], v[2:3], v[16:17]
	v_pk_fma_f32 v[6:7], v[6:7], 0.5, v[12:13] op_sel_hi:[1,0,1] neg_lo:[1,0,0] neg_hi:[1,0,0]
	v_pk_mul_f32 v[16:17], v[8:9], s[0:1] op_sel_hi:[1,0]
	v_pk_mul_f32 v[26:27], v[14:15], s[2:3] op_sel_hi:[1,0]
	v_pk_fma_f32 v[12:13], v[24:25], 0.5, v[12:13] op_sel_hi:[1,0,1] neg_lo:[1,0,0] neg_hi:[1,0,0]
	v_pk_mul_f32 v[14:15], v[14:15], s[0:1] op_sel_hi:[1,0]
	v_pk_add_f32 v[2:3], v[4:5], v[2:3]
	v_pk_add_f32 v[4:5], v[6:7], v[16:17] op_sel:[0,1] op_sel_hi:[1,0]
	v_pk_add_f32 v[6:7], v[6:7], v[16:17] op_sel:[0,1] op_sel_hi:[1,0] neg_lo:[0,1] neg_hi:[0,1]
	v_pk_add_f32 v[18:19], v[28:29], v[10:11] neg_lo:[0,1] neg_hi:[0,1]
	v_pk_mul_f32 v[8:9], v[8:9], s[2:3] op_sel_hi:[1,0]
	v_pk_add_f32 v[16:17], v[12:13], v[14:15] op_sel:[0,1] op_sel_hi:[1,0] neg_lo:[0,1] neg_hi:[0,1]
	v_pk_add_f32 v[12:13], v[12:13], v[14:15] op_sel:[0,1] op_sel_hi:[1,0]
	global_store_dwordx2 v[0:1], v[2:3], off
	v_pk_add_f32 v[2:3], v[6:7], v[26:27] op_sel:[0,1] op_sel_hi:[1,0] neg_lo:[0,1] neg_hi:[0,1]
	v_pk_add_f32 v[4:5], v[4:5], v[26:27] op_sel:[0,1] op_sel_hi:[1,0]
	v_pk_add_f32 v[10:11], v[10:11], v[28:29] neg_lo:[0,1] neg_hi:[0,1]
	v_pk_add_f32 v[18:19], v[18:19], v[20:21]
	v_pk_add_f32 v[6:7], v[12:13], v[8:9] op_sel:[0,1] op_sel_hi:[1,0] neg_lo:[0,1] neg_hi:[0,1]
	v_pk_add_f32 v[8:9], v[16:17], v[8:9] op_sel:[0,1] op_sel_hi:[1,0]
	v_mov_b32_e32 v12, v4
	v_mov_b32_e32 v13, v3
	v_pk_add_f32 v[10:11], v[10:11], v[22:23]
	v_mov_b32_e32 v14, v8
	v_mov_b32_e32 v15, v7
	;; [unrolled: 1-line block ×4, first 2 shown]
	v_pk_fma_f32 v[4:5], v[18:19], s[4:5], v[12:13] op_sel_hi:[1,0,1]
	v_pk_fma_f32 v[8:9], v[10:11], s[4:5], v[14:15] op_sel_hi:[1,0,1]
	;; [unrolled: 1-line block ×4, first 2 shown]
	global_store_dwordx2 v[0:1], v[4:5], off offset:136
	global_store_dwordx2 v[0:1], v[8:9], off offset:272
	;; [unrolled: 1-line block ×4, first 2 shown]
.LBB0_18:
	s_endpgm
	.section	.rodata,"a",@progbits
	.p2align	6, 0x0
	.amdhsa_kernel fft_rtc_fwd_len85_factors_17_5_wgs_255_tpt_17_halfLds_sp_op_CI_CI_unitstride_sbrr_dirReg
		.amdhsa_group_segment_fixed_size 0
		.amdhsa_private_segment_fixed_size 0
		.amdhsa_kernarg_size 104
		.amdhsa_user_sgpr_count 2
		.amdhsa_user_sgpr_dispatch_ptr 0
		.amdhsa_user_sgpr_queue_ptr 0
		.amdhsa_user_sgpr_kernarg_segment_ptr 1
		.amdhsa_user_sgpr_dispatch_id 0
		.amdhsa_user_sgpr_kernarg_preload_length 0
		.amdhsa_user_sgpr_kernarg_preload_offset 0
		.amdhsa_user_sgpr_private_segment_size 0
		.amdhsa_uses_dynamic_stack 0
		.amdhsa_enable_private_segment 0
		.amdhsa_system_sgpr_workgroup_id_x 1
		.amdhsa_system_sgpr_workgroup_id_y 0
		.amdhsa_system_sgpr_workgroup_id_z 0
		.amdhsa_system_sgpr_workgroup_info 0
		.amdhsa_system_vgpr_workitem_id 0
		.amdhsa_next_free_vgpr 156
		.amdhsa_next_free_sgpr 78
		.amdhsa_accum_offset 156
		.amdhsa_reserve_vcc 1
		.amdhsa_float_round_mode_32 0
		.amdhsa_float_round_mode_16_64 0
		.amdhsa_float_denorm_mode_32 3
		.amdhsa_float_denorm_mode_16_64 3
		.amdhsa_dx10_clamp 1
		.amdhsa_ieee_mode 1
		.amdhsa_fp16_overflow 0
		.amdhsa_tg_split 0
		.amdhsa_exception_fp_ieee_invalid_op 0
		.amdhsa_exception_fp_denorm_src 0
		.amdhsa_exception_fp_ieee_div_zero 0
		.amdhsa_exception_fp_ieee_overflow 0
		.amdhsa_exception_fp_ieee_underflow 0
		.amdhsa_exception_fp_ieee_inexact 0
		.amdhsa_exception_int_div_zero 0
	.end_amdhsa_kernel
	.text
.Lfunc_end0:
	.size	fft_rtc_fwd_len85_factors_17_5_wgs_255_tpt_17_halfLds_sp_op_CI_CI_unitstride_sbrr_dirReg, .Lfunc_end0-fft_rtc_fwd_len85_factors_17_5_wgs_255_tpt_17_halfLds_sp_op_CI_CI_unitstride_sbrr_dirReg
                                        ; -- End function
	.section	.AMDGPU.csdata,"",@progbits
; Kernel info:
; codeLenInByte = 7200
; NumSgprs: 84
; NumVgprs: 156
; NumAgprs: 0
; TotalNumVgprs: 156
; ScratchSize: 0
; MemoryBound: 0
; FloatMode: 240
; IeeeMode: 1
; LDSByteSize: 0 bytes/workgroup (compile time only)
; SGPRBlocks: 10
; VGPRBlocks: 19
; NumSGPRsForWavesPerEU: 84
; NumVGPRsForWavesPerEU: 156
; AccumOffset: 156
; Occupancy: 3
; WaveLimiterHint : 1
; COMPUTE_PGM_RSRC2:SCRATCH_EN: 0
; COMPUTE_PGM_RSRC2:USER_SGPR: 2
; COMPUTE_PGM_RSRC2:TRAP_HANDLER: 0
; COMPUTE_PGM_RSRC2:TGID_X_EN: 1
; COMPUTE_PGM_RSRC2:TGID_Y_EN: 0
; COMPUTE_PGM_RSRC2:TGID_Z_EN: 0
; COMPUTE_PGM_RSRC2:TIDIG_COMP_CNT: 0
; COMPUTE_PGM_RSRC3_GFX90A:ACCUM_OFFSET: 38
; COMPUTE_PGM_RSRC3_GFX90A:TG_SPLIT: 0
	.text
	.p2alignl 6, 3212836864
	.fill 256, 4, 3212836864
	.type	__hip_cuid_777f09e8e59c2554,@object ; @__hip_cuid_777f09e8e59c2554
	.section	.bss,"aw",@nobits
	.globl	__hip_cuid_777f09e8e59c2554
__hip_cuid_777f09e8e59c2554:
	.byte	0                               ; 0x0
	.size	__hip_cuid_777f09e8e59c2554, 1

	.ident	"AMD clang version 19.0.0git (https://github.com/RadeonOpenCompute/llvm-project roc-6.4.0 25133 c7fe45cf4b819c5991fe208aaa96edf142730f1d)"
	.section	".note.GNU-stack","",@progbits
	.addrsig
	.addrsig_sym __hip_cuid_777f09e8e59c2554
	.amdgpu_metadata
---
amdhsa.kernels:
  - .agpr_count:     0
    .args:
      - .actual_access:  read_only
        .address_space:  global
        .offset:         0
        .size:           8
        .value_kind:     global_buffer
      - .offset:         8
        .size:           8
        .value_kind:     by_value
      - .actual_access:  read_only
        .address_space:  global
        .offset:         16
        .size:           8
        .value_kind:     global_buffer
      - .actual_access:  read_only
        .address_space:  global
        .offset:         24
        .size:           8
        .value_kind:     global_buffer
      - .actual_access:  read_only
        .address_space:  global
        .offset:         32
        .size:           8
        .value_kind:     global_buffer
      - .offset:         40
        .size:           8
        .value_kind:     by_value
      - .actual_access:  read_only
        .address_space:  global
        .offset:         48
        .size:           8
        .value_kind:     global_buffer
      - .actual_access:  read_only
        .address_space:  global
        .offset:         56
        .size:           8
        .value_kind:     global_buffer
      - .offset:         64
        .size:           4
        .value_kind:     by_value
      - .actual_access:  read_only
        .address_space:  global
        .offset:         72
        .size:           8
        .value_kind:     global_buffer
      - .actual_access:  read_only
        .address_space:  global
        .offset:         80
        .size:           8
        .value_kind:     global_buffer
      - .actual_access:  read_only
        .address_space:  global
        .offset:         88
        .size:           8
        .value_kind:     global_buffer
      - .actual_access:  write_only
        .address_space:  global
        .offset:         96
        .size:           8
        .value_kind:     global_buffer
    .group_segment_fixed_size: 0
    .kernarg_segment_align: 8
    .kernarg_segment_size: 104
    .language:       OpenCL C
    .language_version:
      - 2
      - 0
    .max_flat_workgroup_size: 255
    .name:           fft_rtc_fwd_len85_factors_17_5_wgs_255_tpt_17_halfLds_sp_op_CI_CI_unitstride_sbrr_dirReg
    .private_segment_fixed_size: 0
    .sgpr_count:     84
    .sgpr_spill_count: 0
    .symbol:         fft_rtc_fwd_len85_factors_17_5_wgs_255_tpt_17_halfLds_sp_op_CI_CI_unitstride_sbrr_dirReg.kd
    .uniform_work_group_size: 1
    .uses_dynamic_stack: false
    .vgpr_count:     156
    .vgpr_spill_count: 0
    .wavefront_size: 64
amdhsa.target:   amdgcn-amd-amdhsa--gfx950
amdhsa.version:
  - 1
  - 2
...

	.end_amdgpu_metadata
